;; amdgpu-corpus repo=ROCm/rocm-examples kind=compiled arch=gfx906 opt=O3
	.amdgcn_target "amdgcn-amd-amdhsa--gfx906"
	.amdhsa_code_object_version 6
	.text
	.protected	_Z25log_transformation_kernelPfm15HIP_vector_typeIjLj2EE ; -- Begin function _Z25log_transformation_kernelPfm15HIP_vector_typeIjLj2EE
	.globl	_Z25log_transformation_kernelPfm15HIP_vector_typeIjLj2EE
	.p2align	8
	.type	_Z25log_transformation_kernelPfm15HIP_vector_typeIjLj2EE,@function
_Z25log_transformation_kernelPfm15HIP_vector_typeIjLj2EE: ; @_Z25log_transformation_kernelPfm15HIP_vector_typeIjLj2EE
; %bb.0:
	s_load_dword s2, s[4:5], 0x24
	s_load_dwordx2 s[12:13], s[4:5], 0x10
	s_add_u32 s0, s4, 24
	s_addc_u32 s1, s5, 0
	s_waitcnt lgkmcnt(0)
	s_lshr_b32 s2, s2, 16
	s_mul_i32 s7, s7, s2
	v_add_u32_e32 v4, s7, v1
	v_cmp_gt_u32_e32 vcc, s13, v4
	s_and_saveexec_b64 s[8:9], vcc
	s_cbranch_execz .LBB0_6
; %bb.1:
	s_load_dword s3, s[0:1], 0xc
	s_load_dwordx2 s[14:15], s[0:1], 0x0
	s_load_dwordx4 s[8:11], s[4:5], 0x0
	s_mov_b64 s[4:5], 0
	v_mov_b32_e32 v1, 0
	s_waitcnt lgkmcnt(0)
	s_and_b32 s0, s3, 0xffff
	s_mul_i32 s6, s6, s0
	v_add_u32_e32 v5, s6, v0
	s_mul_i32 s16, s15, s2
	s_mul_i32 s17, s14, s0
	v_cmp_gt_u32_e32 vcc, s12, v5
	s_mov_b32 s18, 0x800000
	s_mov_b32 s19, 0x3f317217
	;; [unrolled: 1-line block ×3, first 2 shown]
	v_mov_b32_e32 v6, 0x41b17218
	s_branch .LBB0_3
.LBB0_2:                                ;   in Loop: Header=BB0_3 Depth=1
	s_or_b64 exec, exec, s[6:7]
	v_add_u32_e32 v4, s16, v4
	v_cmp_le_u32_e64 s[0:1], s13, v4
	s_or_b64 s[4:5], s[0:1], s[4:5]
	s_andn2_b64 exec, exec, s[4:5]
	s_cbranch_execz .LBB0_6
.LBB0_3:                                ; =>This Loop Header: Depth=1
                                        ;     Child Loop BB0_5 Depth 2
	s_and_saveexec_b64 s[6:7], vcc
	s_cbranch_execz .LBB0_2
; %bb.4:                                ;   in Loop: Header=BB0_3 Depth=1
	v_mov_b32_e32 v2, s8
	v_mov_b32_e32 v3, s9
	v_mad_u64_u32 v[2:3], s[0:1], s10, v4, v[2:3]
	s_mov_b64 s[14:15], 0
	v_mov_b32_e32 v0, v3
	v_mad_u64_u32 v[7:8], s[0:1], s11, v4, v[0:1]
	v_mov_b32_e32 v0, v5
	v_mov_b32_e32 v3, v7
.LBB0_5:                                ;   Parent Loop BB0_3 Depth=1
                                        ; =>  This Inner Loop Header: Depth=2
	v_lshlrev_b64 v[7:8], 2, v[0:1]
	v_add_u32_e32 v0, s17, v0
	v_add_co_u32_e64 v7, s[0:1], v2, v7
	v_addc_co_u32_e64 v8, s[0:1], v3, v8, s[0:1]
	global_load_dword v9, v[7:8], off
	v_cmp_le_u32_e64 s[0:1], s12, v0
	s_or_b64 s[14:15], s[0:1], s[14:15]
	s_waitcnt vmcnt(0)
	v_max_f32_e32 v9, v9, v9
	v_max_f32_e32 v9, 0x34000000, v9
	v_cmp_gt_f32_e64 s[2:3], s18, v9
	v_cndmask_b32_e64 v10, 0, 32, s[2:3]
	v_ldexp_f32 v9, v9, v10
	v_log_f32_e32 v9, v9
	v_cndmask_b32_e64 v10, 0, v6, s[2:3]
	v_mul_f32_e32 v11, 0x3f317217, v9
	v_fma_f32 v11, v9, s19, -v11
	v_fmac_f32_e32 v11, 0x3377d1cf, v9
	v_fmac_f32_e32 v11, 0x3f317217, v9
	v_cmp_lt_f32_e64 s[0:1], |v9|, s20
	v_cndmask_b32_e64 v9, v9, v11, s[0:1]
	v_sub_f32_e32 v9, v9, v10
	v_xor_b32_e32 v9, 0x80000000, v9
	global_store_dword v[7:8], v9, off
	s_andn2_b64 exec, exec, s[14:15]
	s_cbranch_execnz .LBB0_5
	s_branch .LBB0_2
.LBB0_6:
	s_endpgm
	.section	.rodata,"a",@progbits
	.p2align	6, 0x0
	.amdhsa_kernel _Z25log_transformation_kernelPfm15HIP_vector_typeIjLj2EE
		.amdhsa_group_segment_fixed_size 0
		.amdhsa_private_segment_fixed_size 0
		.amdhsa_kernarg_size 280
		.amdhsa_user_sgpr_count 6
		.amdhsa_user_sgpr_private_segment_buffer 1
		.amdhsa_user_sgpr_dispatch_ptr 0
		.amdhsa_user_sgpr_queue_ptr 0
		.amdhsa_user_sgpr_kernarg_segment_ptr 1
		.amdhsa_user_sgpr_dispatch_id 0
		.amdhsa_user_sgpr_flat_scratch_init 0
		.amdhsa_user_sgpr_private_segment_size 0
		.amdhsa_uses_dynamic_stack 0
		.amdhsa_system_sgpr_private_segment_wavefront_offset 0
		.amdhsa_system_sgpr_workgroup_id_x 1
		.amdhsa_system_sgpr_workgroup_id_y 1
		.amdhsa_system_sgpr_workgroup_id_z 0
		.amdhsa_system_sgpr_workgroup_info 0
		.amdhsa_system_vgpr_workitem_id 1
		.amdhsa_next_free_vgpr 12
		.amdhsa_next_free_sgpr 21
		.amdhsa_reserve_vcc 1
		.amdhsa_reserve_flat_scratch 0
		.amdhsa_float_round_mode_32 0
		.amdhsa_float_round_mode_16_64 0
		.amdhsa_float_denorm_mode_32 3
		.amdhsa_float_denorm_mode_16_64 3
		.amdhsa_dx10_clamp 1
		.amdhsa_ieee_mode 1
		.amdhsa_fp16_overflow 0
		.amdhsa_exception_fp_ieee_invalid_op 0
		.amdhsa_exception_fp_denorm_src 0
		.amdhsa_exception_fp_ieee_div_zero 0
		.amdhsa_exception_fp_ieee_overflow 0
		.amdhsa_exception_fp_ieee_underflow 0
		.amdhsa_exception_fp_ieee_inexact 0
		.amdhsa_exception_int_div_zero 0
	.end_amdhsa_kernel
	.text
.Lfunc_end0:
	.size	_Z25log_transformation_kernelPfm15HIP_vector_typeIjLj2EE, .Lfunc_end0-_Z25log_transformation_kernelPfm15HIP_vector_typeIjLj2EE
                                        ; -- End function
	.set _Z25log_transformation_kernelPfm15HIP_vector_typeIjLj2EE.num_vgpr, 12
	.set _Z25log_transformation_kernelPfm15HIP_vector_typeIjLj2EE.num_agpr, 0
	.set _Z25log_transformation_kernelPfm15HIP_vector_typeIjLj2EE.numbered_sgpr, 21
	.set _Z25log_transformation_kernelPfm15HIP_vector_typeIjLj2EE.num_named_barrier, 0
	.set _Z25log_transformation_kernelPfm15HIP_vector_typeIjLj2EE.private_seg_size, 0
	.set _Z25log_transformation_kernelPfm15HIP_vector_typeIjLj2EE.uses_vcc, 1
	.set _Z25log_transformation_kernelPfm15HIP_vector_typeIjLj2EE.uses_flat_scratch, 0
	.set _Z25log_transformation_kernelPfm15HIP_vector_typeIjLj2EE.has_dyn_sized_stack, 0
	.set _Z25log_transformation_kernelPfm15HIP_vector_typeIjLj2EE.has_recursion, 0
	.set _Z25log_transformation_kernelPfm15HIP_vector_typeIjLj2EE.has_indirect_call, 0
	.section	.AMDGPU.csdata,"",@progbits
; Kernel info:
; codeLenInByte = 412
; TotalNumSgprs: 25
; NumVgprs: 12
; ScratchSize: 0
; MemoryBound: 0
; FloatMode: 240
; IeeeMode: 1
; LDSByteSize: 0 bytes/workgroup (compile time only)
; SGPRBlocks: 3
; VGPRBlocks: 2
; NumSGPRsForWavesPerEU: 25
; NumVGPRsForWavesPerEU: 12
; Occupancy: 10
; WaveLimiterHint : 0
; COMPUTE_PGM_RSRC2:SCRATCH_EN: 0
; COMPUTE_PGM_RSRC2:USER_SGPR: 6
; COMPUTE_PGM_RSRC2:TRAP_HANDLER: 0
; COMPUTE_PGM_RSRC2:TGID_X_EN: 1
; COMPUTE_PGM_RSRC2:TGID_Y_EN: 1
; COMPUTE_PGM_RSRC2:TGID_Z_EN: 0
; COMPUTE_PGM_RSRC2:TIDIG_COMP_CNT: 1
	.section	.AMDGPU.gpr_maximums,"",@progbits
	.set amdgpu.max_num_vgpr, 0
	.set amdgpu.max_num_agpr, 0
	.set amdgpu.max_num_sgpr, 0
	.section	.AMDGPU.csdata,"",@progbits
	.type	__hip_cuid_b6ec366a561ab836,@object ; @__hip_cuid_b6ec366a561ab836
	.section	.bss,"aw",@nobits
	.globl	__hip_cuid_b6ec366a561ab836
__hip_cuid_b6ec366a561ab836:
	.byte	0                               ; 0x0
	.size	__hip_cuid_b6ec366a561ab836, 1

	.ident	"AMD clang version 22.0.0git (https://github.com/RadeonOpenCompute/llvm-project roc-7.2.4 26084 f58b06dce1f9c15707c5f808fd002e18c2accf7e)"
	.section	".note.GNU-stack","",@progbits
	.addrsig
	.addrsig_sym __hip_cuid_b6ec366a561ab836
	.amdgpu_metadata
---
amdhsa.kernels:
  - .args:
      - .address_space:  global
        .offset:         0
        .size:           8
        .value_kind:     global_buffer
      - .offset:         8
        .size:           8
        .value_kind:     by_value
      - .offset:         16
        .size:           8
        .value_kind:     by_value
      - .offset:         24
        .size:           4
        .value_kind:     hidden_block_count_x
      - .offset:         28
        .size:           4
        .value_kind:     hidden_block_count_y
      - .offset:         32
        .size:           4
        .value_kind:     hidden_block_count_z
      - .offset:         36
        .size:           2
        .value_kind:     hidden_group_size_x
      - .offset:         38
        .size:           2
        .value_kind:     hidden_group_size_y
      - .offset:         40
        .size:           2
        .value_kind:     hidden_group_size_z
      - .offset:         42
        .size:           2
        .value_kind:     hidden_remainder_x
      - .offset:         44
        .size:           2
        .value_kind:     hidden_remainder_y
      - .offset:         46
        .size:           2
        .value_kind:     hidden_remainder_z
      - .offset:         64
        .size:           8
        .value_kind:     hidden_global_offset_x
      - .offset:         72
        .size:           8
        .value_kind:     hidden_global_offset_y
      - .offset:         80
        .size:           8
        .value_kind:     hidden_global_offset_z
      - .offset:         88
        .size:           2
        .value_kind:     hidden_grid_dims
    .group_segment_fixed_size: 0
    .kernarg_segment_align: 8
    .kernarg_segment_size: 280
    .language:       OpenCL C
    .language_version:
      - 2
      - 0
    .max_flat_workgroup_size: 1024
    .name:           _Z25log_transformation_kernelPfm15HIP_vector_typeIjLj2EE
    .private_segment_fixed_size: 0
    .sgpr_count:     25
    .sgpr_spill_count: 0
    .symbol:         _Z25log_transformation_kernelPfm15HIP_vector_typeIjLj2EE.kd
    .uniform_work_group_size: 1
    .uses_dynamic_stack: false
    .vgpr_count:     12
    .vgpr_spill_count: 0
    .wavefront_size: 64
amdhsa.target:   amdgcn-amd-amdhsa--gfx906
amdhsa.version:
  - 1
  - 2
...

	.end_amdgpu_metadata
